;; amdgpu-corpus repo=ROCm/rocFFT kind=compiled arch=gfx1030 opt=O3
	.text
	.amdgcn_target "amdgcn-amd-amdhsa--gfx1030"
	.amdhsa_code_object_version 6
	.protected	fft_rtc_back_len640_factors_8_10_8_wgs_128_tpt_64_halfLds_dp_ip_CI_unitstride_sbrr_C2R_dirReg ; -- Begin function fft_rtc_back_len640_factors_8_10_8_wgs_128_tpt_64_halfLds_dp_ip_CI_unitstride_sbrr_C2R_dirReg
	.globl	fft_rtc_back_len640_factors_8_10_8_wgs_128_tpt_64_halfLds_dp_ip_CI_unitstride_sbrr_C2R_dirReg
	.p2align	8
	.type	fft_rtc_back_len640_factors_8_10_8_wgs_128_tpt_64_halfLds_dp_ip_CI_unitstride_sbrr_C2R_dirReg,@function
fft_rtc_back_len640_factors_8_10_8_wgs_128_tpt_64_halfLds_dp_ip_CI_unitstride_sbrr_C2R_dirReg: ; @fft_rtc_back_len640_factors_8_10_8_wgs_128_tpt_64_halfLds_dp_ip_CI_unitstride_sbrr_C2R_dirReg
; %bb.0:
	s_clause 0x2
	s_load_dwordx4 s[8:11], s[4:5], 0x0
	s_load_dwordx2 s[2:3], s[4:5], 0x50
	s_load_dwordx2 s[12:13], s[4:5], 0x18
	v_lshrrev_b32_e32 v1, 6, v0
	v_mov_b32_e32 v3, 0
	v_lshl_or_b32 v5, s6, 1, v1
	v_mov_b32_e32 v1, 0
	v_mov_b32_e32 v6, v3
	v_mov_b32_e32 v2, 0
	s_waitcnt lgkmcnt(0)
	v_cmp_lt_u64_e64 s0, s[10:11], 2
	s_and_b32 vcc_lo, exec_lo, s0
	s_cbranch_vccnz .LBB0_8
; %bb.1:
	s_load_dwordx2 s[0:1], s[4:5], 0x10
	v_mov_b32_e32 v1, 0
	s_add_u32 s6, s12, 8
	v_mov_b32_e32 v2, 0
	s_addc_u32 s7, s13, 0
	s_mov_b64 s[16:17], 1
	s_waitcnt lgkmcnt(0)
	s_add_u32 s14, s0, 8
	s_addc_u32 s15, s1, 0
.LBB0_2:                                ; =>This Inner Loop Header: Depth=1
	s_load_dwordx2 s[18:19], s[14:15], 0x0
                                        ; implicit-def: $vgpr7_vgpr8
	s_mov_b32 s0, exec_lo
	s_waitcnt lgkmcnt(0)
	v_or_b32_e32 v4, s19, v6
	v_cmpx_ne_u64_e32 0, v[3:4]
	s_xor_b32 s1, exec_lo, s0
	s_cbranch_execz .LBB0_4
; %bb.3:                                ;   in Loop: Header=BB0_2 Depth=1
	v_cvt_f32_u32_e32 v4, s18
	v_cvt_f32_u32_e32 v7, s19
	s_sub_u32 s0, 0, s18
	s_subb_u32 s20, 0, s19
	v_fmac_f32_e32 v4, 0x4f800000, v7
	v_rcp_f32_e32 v4, v4
	v_mul_f32_e32 v4, 0x5f7ffffc, v4
	v_mul_f32_e32 v7, 0x2f800000, v4
	v_trunc_f32_e32 v7, v7
	v_fmac_f32_e32 v4, 0xcf800000, v7
	v_cvt_u32_f32_e32 v7, v7
	v_cvt_u32_f32_e32 v4, v4
	v_mul_lo_u32 v8, s0, v7
	v_mul_hi_u32 v9, s0, v4
	v_mul_lo_u32 v10, s20, v4
	v_add_nc_u32_e32 v8, v9, v8
	v_mul_lo_u32 v9, s0, v4
	v_add_nc_u32_e32 v8, v8, v10
	v_mul_hi_u32 v10, v4, v9
	v_mul_lo_u32 v11, v4, v8
	v_mul_hi_u32 v12, v4, v8
	v_mul_hi_u32 v13, v7, v9
	v_mul_lo_u32 v9, v7, v9
	v_mul_hi_u32 v14, v7, v8
	v_mul_lo_u32 v8, v7, v8
	v_add_co_u32 v10, vcc_lo, v10, v11
	v_add_co_ci_u32_e32 v11, vcc_lo, 0, v12, vcc_lo
	v_add_co_u32 v9, vcc_lo, v10, v9
	v_add_co_ci_u32_e32 v9, vcc_lo, v11, v13, vcc_lo
	v_add_co_ci_u32_e32 v10, vcc_lo, 0, v14, vcc_lo
	v_add_co_u32 v8, vcc_lo, v9, v8
	v_add_co_ci_u32_e32 v9, vcc_lo, 0, v10, vcc_lo
	v_add_co_u32 v4, vcc_lo, v4, v8
	v_add_co_ci_u32_e32 v7, vcc_lo, v7, v9, vcc_lo
	v_mul_hi_u32 v8, s0, v4
	v_mul_lo_u32 v10, s20, v4
	v_mul_lo_u32 v9, s0, v7
	v_add_nc_u32_e32 v8, v8, v9
	v_mul_lo_u32 v9, s0, v4
	v_add_nc_u32_e32 v8, v8, v10
	v_mul_hi_u32 v10, v4, v9
	v_mul_lo_u32 v11, v4, v8
	v_mul_hi_u32 v12, v4, v8
	v_mul_hi_u32 v13, v7, v9
	v_mul_lo_u32 v9, v7, v9
	v_mul_hi_u32 v14, v7, v8
	v_mul_lo_u32 v8, v7, v8
	v_add_co_u32 v10, vcc_lo, v10, v11
	v_add_co_ci_u32_e32 v11, vcc_lo, 0, v12, vcc_lo
	v_add_co_u32 v9, vcc_lo, v10, v9
	v_add_co_ci_u32_e32 v9, vcc_lo, v11, v13, vcc_lo
	v_add_co_ci_u32_e32 v10, vcc_lo, 0, v14, vcc_lo
	v_add_co_u32 v8, vcc_lo, v9, v8
	v_add_co_ci_u32_e32 v9, vcc_lo, 0, v10, vcc_lo
	v_add_co_u32 v4, vcc_lo, v4, v8
	v_add_co_ci_u32_e32 v11, vcc_lo, v7, v9, vcc_lo
	v_mul_hi_u32 v13, v5, v4
	v_mad_u64_u32 v[9:10], null, v6, v4, 0
	v_mad_u64_u32 v[7:8], null, v5, v11, 0
	;; [unrolled: 1-line block ×3, first 2 shown]
	v_add_co_u32 v4, vcc_lo, v13, v7
	v_add_co_ci_u32_e32 v7, vcc_lo, 0, v8, vcc_lo
	v_add_co_u32 v4, vcc_lo, v4, v9
	v_add_co_ci_u32_e32 v4, vcc_lo, v7, v10, vcc_lo
	v_add_co_ci_u32_e32 v7, vcc_lo, 0, v12, vcc_lo
	v_add_co_u32 v4, vcc_lo, v4, v11
	v_add_co_ci_u32_e32 v9, vcc_lo, 0, v7, vcc_lo
	v_mul_lo_u32 v10, s19, v4
	v_mad_u64_u32 v[7:8], null, s18, v4, 0
	v_mul_lo_u32 v11, s18, v9
	v_sub_co_u32 v7, vcc_lo, v5, v7
	v_add3_u32 v8, v8, v11, v10
	v_sub_nc_u32_e32 v10, v6, v8
	v_subrev_co_ci_u32_e64 v10, s0, s19, v10, vcc_lo
	v_add_co_u32 v11, s0, v4, 2
	v_add_co_ci_u32_e64 v12, s0, 0, v9, s0
	v_sub_co_u32 v13, s0, v7, s18
	v_sub_co_ci_u32_e32 v8, vcc_lo, v6, v8, vcc_lo
	v_subrev_co_ci_u32_e64 v10, s0, 0, v10, s0
	v_cmp_le_u32_e32 vcc_lo, s18, v13
	v_cmp_eq_u32_e64 s0, s19, v8
	v_cndmask_b32_e64 v13, 0, -1, vcc_lo
	v_cmp_le_u32_e32 vcc_lo, s19, v10
	v_cndmask_b32_e64 v14, 0, -1, vcc_lo
	v_cmp_le_u32_e32 vcc_lo, s18, v7
	;; [unrolled: 2-line block ×3, first 2 shown]
	v_cndmask_b32_e64 v15, 0, -1, vcc_lo
	v_cmp_eq_u32_e32 vcc_lo, s19, v10
	v_cndmask_b32_e64 v7, v15, v7, s0
	v_cndmask_b32_e32 v10, v14, v13, vcc_lo
	v_add_co_u32 v13, vcc_lo, v4, 1
	v_add_co_ci_u32_e32 v14, vcc_lo, 0, v9, vcc_lo
	v_cmp_ne_u32_e32 vcc_lo, 0, v10
	v_cndmask_b32_e32 v8, v14, v12, vcc_lo
	v_cndmask_b32_e32 v10, v13, v11, vcc_lo
	v_cmp_ne_u32_e32 vcc_lo, 0, v7
	v_cndmask_b32_e32 v8, v9, v8, vcc_lo
	v_cndmask_b32_e32 v7, v4, v10, vcc_lo
.LBB0_4:                                ;   in Loop: Header=BB0_2 Depth=1
	s_andn2_saveexec_b32 s0, s1
	s_cbranch_execz .LBB0_6
; %bb.5:                                ;   in Loop: Header=BB0_2 Depth=1
	v_cvt_f32_u32_e32 v4, s18
	s_sub_i32 s1, 0, s18
	v_rcp_iflag_f32_e32 v4, v4
	v_mul_f32_e32 v4, 0x4f7ffffe, v4
	v_cvt_u32_f32_e32 v4, v4
	v_mul_lo_u32 v7, s1, v4
	v_mul_hi_u32 v7, v4, v7
	v_add_nc_u32_e32 v4, v4, v7
	v_mul_hi_u32 v4, v5, v4
	v_mul_lo_u32 v7, v4, s18
	v_add_nc_u32_e32 v8, 1, v4
	v_sub_nc_u32_e32 v7, v5, v7
	v_subrev_nc_u32_e32 v9, s18, v7
	v_cmp_le_u32_e32 vcc_lo, s18, v7
	v_cndmask_b32_e32 v7, v7, v9, vcc_lo
	v_cndmask_b32_e32 v4, v4, v8, vcc_lo
	v_cmp_le_u32_e32 vcc_lo, s18, v7
	v_add_nc_u32_e32 v8, 1, v4
	v_cndmask_b32_e32 v7, v4, v8, vcc_lo
	v_mov_b32_e32 v8, v3
.LBB0_6:                                ;   in Loop: Header=BB0_2 Depth=1
	s_or_b32 exec_lo, exec_lo, s0
	s_load_dwordx2 s[0:1], s[6:7], 0x0
	v_mul_lo_u32 v4, v8, s18
	v_mul_lo_u32 v11, v7, s19
	v_mad_u64_u32 v[9:10], null, v7, s18, 0
	s_add_u32 s16, s16, 1
	s_addc_u32 s17, s17, 0
	s_add_u32 s6, s6, 8
	s_addc_u32 s7, s7, 0
	;; [unrolled: 2-line block ×3, first 2 shown]
	v_add3_u32 v4, v10, v11, v4
	v_sub_co_u32 v5, vcc_lo, v5, v9
	v_sub_co_ci_u32_e32 v4, vcc_lo, v6, v4, vcc_lo
	s_waitcnt lgkmcnt(0)
	v_mul_lo_u32 v6, s1, v5
	v_mul_lo_u32 v4, s0, v4
	v_mad_u64_u32 v[1:2], null, s0, v5, v[1:2]
	v_cmp_ge_u64_e64 s0, s[16:17], s[10:11]
	s_and_b32 vcc_lo, exec_lo, s0
	v_add3_u32 v2, v6, v2, v4
	s_cbranch_vccnz .LBB0_9
; %bb.7:                                ;   in Loop: Header=BB0_2 Depth=1
	v_mov_b32_e32 v5, v7
	v_mov_b32_e32 v6, v8
	s_branch .LBB0_2
.LBB0_8:
	v_mov_b32_e32 v8, v6
	v_mov_b32_e32 v7, v5
.LBB0_9:
	s_lshl_b64 s[0:1], s[10:11], 3
	v_and_b32_e32 v65, 63, v0
	s_add_u32 s0, s12, s0
	s_addc_u32 s1, s13, s1
	s_load_dwordx2 s[0:1], s[0:1], 0x0
	s_load_dwordx2 s[4:5], s[4:5], 0x20
	s_waitcnt lgkmcnt(0)
	v_mad_u64_u32 v[2:3], null, s0, v7, v[1:2]
	v_and_b32_e32 v1, 64, v0
	v_mul_lo_u32 v4, s0, v8
	v_mul_lo_u32 v5, s1, v7
	v_cmp_ne_u32_e32 vcc_lo, 0, v1
	v_add3_u32 v3, v5, v3, v4
	v_cndmask_b32_e64 v1, 0, 0x281, vcc_lo
	v_cmp_gt_u64_e32 vcc_lo, s[4:5], v[7:8]
	v_lshlrev_b64 v[67:68], 4, v[2:3]
	v_lshlrev_b32_e32 v33, 4, v1
	s_and_saveexec_b32 s1, vcc_lo
	s_cbranch_execz .LBB0_13
; %bb.10:
	v_lshlrev_b32_e32 v4, 4, v65
	v_add_co_u32 v2, s0, s2, v67
	v_add_co_ci_u32_e64 v3, s0, s3, v68, s0
	v_or_b32_e32 v5, 0x800, v4
	v_add_co_u32 v9, s0, v2, v4
	v_or_b32_e32 v6, 0xc00, v4
	v_add_co_ci_u32_e64 v10, s0, 0, v3, s0
	v_add_co_u32 v13, s0, v2, v5
	v_or_b32_e32 v21, 0x1000, v4
	v_add_co_ci_u32_e64 v14, s0, 0, v3, s0
	;; [unrolled: 3-line block ×7, first 2 shown]
	v_add_co_u32 v38, s0, v2, v24
	v_add_co_ci_u32_e64 v39, s0, 0, v3, s0
	v_add_co_u32 v42, s0, v2, v23
	v_add_co_ci_u32_e64 v43, s0, 0, v3, s0
	s_clause 0x9
	global_load_dwordx4 v[5:8], v[9:10], off
	global_load_dwordx4 v[9:12], v[9:10], off offset:1024
	global_load_dwordx4 v[13:16], v[13:14], off
	global_load_dwordx4 v[17:20], v[17:18], off
	;; [unrolled: 1-line block ×8, first 2 shown]
	v_add3_u32 v4, 0, v33, v4
	s_mov_b32 s4, exec_lo
	s_waitcnt vmcnt(9)
	ds_write_b128 v4, v[5:8]
	s_waitcnt vmcnt(8)
	ds_write_b128 v4, v[9:12] offset:1024
	s_waitcnt vmcnt(7)
	ds_write_b128 v4, v[13:16] offset:2048
	;; [unrolled: 2-line block ×9, first 2 shown]
	v_cmpx_eq_u32_e32 63, v65
	s_cbranch_execz .LBB0_12
; %bb.11:
	v_add_co_u32 v2, s0, 0x2800, v2
	v_add_co_ci_u32_e64 v3, s0, 0, v3, s0
	v_mov_b32_e32 v65, 63
	global_load_dwordx4 v[5:8], v[2:3], off
	s_waitcnt vmcnt(0)
	ds_write_b128 v4, v[5:8] offset:9232
.LBB0_12:
	s_or_b32 exec_lo, exec_lo, s4
.LBB0_13:
	s_or_b32 exec_lo, exec_lo, s1
	v_lshl_add_u32 v69, v1, 4, 0
	v_lshlrev_b32_e32 v12, 4, v65
	s_waitcnt lgkmcnt(0)
	s_barrier
	buffer_gl0_inv
	v_cmp_ne_u32_e64 s0, 0, v65
	v_add_nc_u32_e32 v34, v69, v12
	v_sub_nc_u32_e32 v11, v69, v12
	s_add_u32 s4, s8, 0x2780
	s_addc_u32 s5, s9, 0
	ds_read_b64 v[7:8], v34
	ds_read_b64 v[9:10], v11 offset:10240
                                        ; implicit-def: $vgpr5_vgpr6
	s_waitcnt lgkmcnt(0)
	v_add_f64 v[1:2], v[7:8], v[9:10]
	v_add_f64 v[3:4], v[7:8], -v[9:10]
	s_and_saveexec_b32 s1, s0
	s_xor_b32 s0, exec_lo, s1
	s_cbranch_execz .LBB0_15
; %bb.14:
	global_load_dwordx4 v[3:6], v12, s[4:5]
	ds_read_b64 v[1:2], v11 offset:10248
	ds_read_b64 v[13:14], v34 offset:8
	v_add_f64 v[15:16], v[7:8], v[9:10]
	v_add_f64 v[17:18], v[7:8], -v[9:10]
	v_mov_b32_e32 v66, 0
	s_waitcnt lgkmcnt(0)
	v_add_f64 v[7:8], v[1:2], v[13:14]
	v_add_f64 v[1:2], v[13:14], -v[1:2]
	s_waitcnt vmcnt(0)
	v_fma_f64 v[9:10], v[17:18], v[5:6], v[15:16]
	v_fma_f64 v[13:14], -v[17:18], v[5:6], v[15:16]
	v_fma_f64 v[15:16], v[7:8], v[5:6], -v[1:2]
	v_fma_f64 v[5:6], v[7:8], v[5:6], v[1:2]
	v_fma_f64 v[1:2], -v[7:8], v[3:4], v[9:10]
	v_fma_f64 v[7:8], v[7:8], v[3:4], v[13:14]
	v_fma_f64 v[9:10], v[17:18], v[3:4], v[15:16]
	v_fma_f64 v[3:4], v[17:18], v[3:4], v[5:6]
	v_mov_b32_e32 v5, v65
	v_mov_b32_e32 v6, v66
	ds_write_b128 v11, v[7:10] offset:10240
.LBB0_15:
	s_andn2_saveexec_b32 s0, s0
	s_cbranch_execz .LBB0_17
; %bb.16:
	ds_read_b128 v[5:8], v69 offset:5120
	s_waitcnt lgkmcnt(0)
	v_add_f64 v[13:14], v[5:6], v[5:6]
	v_mul_f64 v[15:16], v[7:8], -2.0
	v_mov_b32_e32 v5, 0
	v_mov_b32_e32 v6, 0
	ds_write_b128 v69, v[13:16] offset:5120
.LBB0_17:
	s_or_b32 exec_lo, exec_lo, s0
	v_lshlrev_b64 v[5:6], 4, v[5:6]
	v_or_b32_e32 v9, 0x800, v12
	ds_write_b128 v34, v[1:4]
	v_add_nc_u32_e32 v98, 0, v12
	v_add_co_u32 v5, s0, s4, v5
	v_add_co_ci_u32_e64 v6, s0, s5, v6, s0
	v_add_nc_u32_e32 v66, v98, v33
	s_mov_b32 s0, 0x667f3bcd
	s_mov_b32 s1, 0xbfe6a09e
	s_clause 0x1
	global_load_dwordx4 v[5:8], v[5:6], off offset:1024
	global_load_dwordx4 v[13:16], v9, s[4:5]
	v_or_b32_e32 v9, 0xc00, v12
	global_load_dwordx4 v[17:20], v9, s[4:5]
	v_or_b32_e32 v9, 0x1000, v12
	ds_read_b128 v[1:4], v34 offset:1024
	ds_read_b128 v[21:24], v11 offset:9216
	global_load_dwordx4 v[25:28], v9, s[4:5]
	s_mov_b32 s5, 0x3fe6a09e
	s_mov_b32 s4, s0
	s_waitcnt lgkmcnt(0)
	v_add_f64 v[9:10], v[1:2], v[21:22]
	v_add_f64 v[29:30], v[23:24], v[3:4]
	v_add_f64 v[21:22], v[1:2], -v[21:22]
	v_add_f64 v[1:2], v[3:4], -v[23:24]
	s_waitcnt vmcnt(3)
	v_fma_f64 v[3:4], v[21:22], v[7:8], v[9:10]
	v_fma_f64 v[23:24], v[29:30], v[7:8], v[1:2]
	v_fma_f64 v[9:10], -v[21:22], v[7:8], v[9:10]
	v_fma_f64 v[31:32], v[29:30], v[7:8], -v[1:2]
	v_fma_f64 v[1:2], -v[29:30], v[5:6], v[3:4]
	v_fma_f64 v[3:4], v[21:22], v[5:6], v[23:24]
	v_fma_f64 v[7:8], v[29:30], v[5:6], v[9:10]
	v_fma_f64 v[9:10], v[21:22], v[5:6], v[31:32]
	ds_write_b128 v34, v[1:4] offset:1024
	ds_write_b128 v11, v[7:10] offset:9216
	ds_read_b128 v[1:4], v34 offset:2048
	ds_read_b128 v[5:8], v11 offset:8192
	s_waitcnt lgkmcnt(0)
	v_add_f64 v[9:10], v[1:2], v[5:6]
	v_add_f64 v[21:22], v[7:8], v[3:4]
	v_add_f64 v[23:24], v[1:2], -v[5:6]
	v_add_f64 v[1:2], v[3:4], -v[7:8]
	s_waitcnt vmcnt(2)
	v_fma_f64 v[3:4], v[23:24], v[15:16], v[9:10]
	v_fma_f64 v[5:6], v[21:22], v[15:16], v[1:2]
	v_fma_f64 v[7:8], -v[23:24], v[15:16], v[9:10]
	v_fma_f64 v[9:10], v[21:22], v[15:16], -v[1:2]
	v_fma_f64 v[1:2], -v[21:22], v[13:14], v[3:4]
	v_fma_f64 v[3:4], v[23:24], v[13:14], v[5:6]
	v_fma_f64 v[5:6], v[21:22], v[13:14], v[7:8]
	v_fma_f64 v[7:8], v[23:24], v[13:14], v[9:10]
	ds_write_b128 v34, v[1:4] offset:2048
	ds_write_b128 v11, v[5:8] offset:8192
	ds_read_b128 v[1:4], v34 offset:3072
	ds_read_b128 v[5:8], v11 offset:7168
	;; [unrolled: 18-line block ×3, first 2 shown]
	s_waitcnt lgkmcnt(0)
	v_add_f64 v[9:10], v[1:2], v[5:6]
	v_add_f64 v[13:14], v[7:8], v[3:4]
	v_add_f64 v[15:16], v[1:2], -v[5:6]
	v_add_f64 v[1:2], v[3:4], -v[7:8]
	s_waitcnt vmcnt(0)
	v_fma_f64 v[3:4], v[15:16], v[27:28], v[9:10]
	v_fma_f64 v[5:6], v[13:14], v[27:28], v[1:2]
	v_fma_f64 v[7:8], -v[15:16], v[27:28], v[9:10]
	v_fma_f64 v[9:10], v[13:14], v[27:28], -v[1:2]
	v_fma_f64 v[1:2], -v[13:14], v[25:26], v[3:4]
	v_fma_f64 v[3:4], v[15:16], v[25:26], v[5:6]
	v_fma_f64 v[5:6], v[13:14], v[25:26], v[7:8]
	;; [unrolled: 1-line block ×3, first 2 shown]
	ds_write_b128 v34, v[1:4] offset:4096
	ds_write_b128 v11, v[5:8] offset:6144
	s_waitcnt lgkmcnt(0)
	s_barrier
	buffer_gl0_inv
	s_barrier
	buffer_gl0_inv
	ds_read_b128 v[1:4], v66 offset:5120
	ds_read_b128 v[5:8], v34
	ds_read_b128 v[9:12], v66 offset:2560
	ds_read_b128 v[13:16], v66 offset:7680
	;; [unrolled: 1-line block ×14, first 2 shown]
	s_waitcnt lgkmcnt(0)
	s_barrier
	buffer_gl0_inv
	v_add_f64 v[1:2], v[5:6], -v[1:2]
	v_add_f64 v[3:4], v[7:8], -v[3:4]
	;; [unrolled: 1-line block ×16, first 2 shown]
	v_fma_f64 v[5:6], v[5:6], 2.0, -v[1:2]
	v_fma_f64 v[7:8], v[7:8], 2.0, -v[3:4]
	;; [unrolled: 1-line block ×4, first 2 shown]
	v_add_f64 v[76:77], v[1:2], v[15:16]
	v_fma_f64 v[15:16], v[17:18], 2.0, -v[21:22]
	v_add_f64 v[72:73], v[21:22], v[27:28]
	v_add_f64 v[74:75], v[23:24], -v[25:26]
	v_fma_f64 v[17:18], v[19:20], 2.0, -v[23:24]
	v_fma_f64 v[19:20], v[29:30], 2.0, -v[25:26]
	;; [unrolled: 1-line block ×3, first 2 shown]
	v_add_f64 v[78:79], v[3:4], -v[13:14]
	v_fma_f64 v[13:14], v[35:36], 2.0, -v[47:48]
	v_fma_f64 v[31:32], v[37:38], 2.0, -v[49:50]
	;; [unrolled: 1-line block ×5, first 2 shown]
	v_add_f64 v[80:81], v[51:52], v[63:64]
	v_add_f64 v[82:83], v[53:54], -v[70:71]
	v_add_f64 v[84:85], v[47:48], v[57:58]
	v_add_f64 v[86:87], v[49:50], -v[55:56]
	v_fma_f64 v[55:56], v[41:42], 2.0, -v[53:54]
	v_fma_f64 v[37:38], v[59:60], 2.0, -v[70:71]
	;; [unrolled: 1-line block ×4, first 2 shown]
	v_add_f64 v[1:2], v[5:6], -v[9:10]
	v_fma_f64 v[21:22], v[21:22], 2.0, -v[72:73]
	v_fma_f64 v[23:24], v[23:24], 2.0, -v[74:75]
	v_add_f64 v[9:10], v[7:8], -v[11:12]
	v_add_f64 v[11:12], v[15:16], -v[19:20]
	;; [unrolled: 1-line block ×3, first 2 shown]
	v_fma_f64 v[88:89], v[3:4], 2.0, -v[78:79]
	v_fma_f64 v[3:4], v[74:75], s[4:5], v[78:79]
	v_fma_f64 v[41:42], v[72:73], s[4:5], v[76:77]
	v_add_f64 v[60:61], v[13:14], -v[29:30]
	v_add_f64 v[62:63], v[31:32], -v[35:36]
	v_mad_u32_u24 v35, 0x70, v65, v98
	v_fma_f64 v[57:58], v[51:52], 2.0, -v[80:81]
	v_fma_f64 v[52:53], v[53:54], 2.0, -v[82:83]
	;; [unrolled: 1-line block ×4, first 2 shown]
	v_fma_f64 v[94:95], v[80:81], s[4:5], v[84:85]
	v_add_f64 v[46:47], v[44:45], -v[37:38]
	v_add_f64 v[48:49], v[55:56], -v[39:40]
	v_fma_f64 v[96:97], v[82:83], s[4:5], v[86:87]
	v_add_nc_u32_e32 v64, v35, v33
	v_fma_f64 v[5:6], v[5:6], 2.0, -v[1:2]
	v_fma_f64 v[90:91], v[21:22], s[0:1], v[70:71]
	v_fma_f64 v[7:8], v[7:8], 2.0, -v[9:10]
	v_fma_f64 v[15:16], v[15:16], 2.0, -v[11:12]
	;; [unrolled: 1-line block ×3, first 2 shown]
	v_fma_f64 v[92:93], v[23:24], s[0:1], v[88:89]
	v_fma_f64 v[38:39], v[72:73], s[0:1], v[3:4]
	;; [unrolled: 1-line block ×3, first 2 shown]
	v_add_f64 v[40:41], v[1:2], v[19:20]
	v_add_f64 v[42:43], v[9:10], -v[11:12]
	v_fma_f64 v[29:30], v[13:14], 2.0, -v[60:61]
	v_fma_f64 v[31:32], v[31:32], 2.0, -v[62:63]
	v_fma_f64 v[3:4], v[57:58], s[0:1], v[25:26]
	v_fma_f64 v[72:73], v[52:53], s[0:1], v[27:28]
	v_fma_f64 v[11:12], v[44:45], 2.0, -v[46:47]
	v_fma_f64 v[74:75], v[55:56], 2.0, -v[48:49]
	v_add_f64 v[17:18], v[60:61], v[48:49]
	v_add_f64 v[19:20], v[62:63], -v[46:47]
	v_fma_f64 v[48:49], v[23:24], s[4:5], v[90:91]
	v_fma_f64 v[23:24], v[80:81], s[0:1], v[96:97]
	v_add_f64 v[44:45], v[5:6], -v[15:16]
	v_add_f64 v[46:47], v[7:8], -v[50:51]
	v_fma_f64 v[50:51], v[21:22], s[0:1], v[92:93]
	v_fma_f64 v[21:22], v[82:83], s[4:5], v[94:95]
	v_fma_f64 v[54:55], v[9:10], 2.0, -v[42:43]
	v_fma_f64 v[13:14], v[52:53], s[4:5], v[3:4]
	v_fma_f64 v[15:16], v[57:58], s[0:1], v[72:73]
	v_fma_f64 v[52:53], v[1:2], 2.0, -v[40:41]
	v_add_f64 v[9:10], v[29:30], -v[11:12]
	v_add_f64 v[11:12], v[31:32], -v[74:75]
	v_fma_f64 v[1:2], v[60:61], 2.0, -v[17:18]
	v_fma_f64 v[3:4], v[62:63], 2.0, -v[19:20]
	;; [unrolled: 1-line block ×5, first 2 shown]
	v_or_b32_e32 v70, 64, v65
	v_cmp_gt_u32_e64 s0, 16, v65
	v_fma_f64 v[60:61], v[5:6], 2.0, -v[44:45]
	v_fma_f64 v[62:63], v[7:8], 2.0, -v[46:47]
	;; [unrolled: 1-line block ×5, first 2 shown]
	ds_write_b128 v64, v[40:43] offset:96
	ds_write_b128 v64, v[52:55] offset:32
	;; [unrolled: 1-line block ×5, first 2 shown]
	ds_write_b128 v64, v[60:63]
	ds_write_b128 v64, v[71:74] offset:16
	ds_write_b128 v64, v[36:39] offset:112
	s_and_saveexec_b32 s1, s0
	s_cbranch_execz .LBB0_19
; %bb.18:
	v_fma_f64 v[31:32], v[31:32], 2.0, -v[11:12]
	v_fma_f64 v[29:30], v[29:30], 2.0, -v[9:10]
	v_fma_f64 v[27:28], v[27:28], 2.0, -v[15:16]
	v_fma_f64 v[25:26], v[25:26], 2.0, -v[13:14]
	v_lshlrev_b32_e32 v36, 7, v70
	v_add3_u32 v36, 0, v36, v33
	ds_write_b128 v36, v[1:4] offset:32
	ds_write_b128 v36, v[5:8] offset:48
	;; [unrolled: 1-line block ×5, first 2 shown]
	ds_write_b128 v36, v[29:32]
	ds_write_b128 v36, v[25:28] offset:16
	ds_write_b128 v36, v[21:24] offset:112
.LBB0_19:
	s_or_b32 exec_lo, exec_lo, s1
	v_and_b32_e32 v25, 7, v0
	s_waitcnt lgkmcnt(0)
	s_barrier
	buffer_gl0_inv
	s_mov_b32 s4, 0x134454ff
	v_mul_u32_u24_e32 v0, 9, v25
	s_mov_b32 s5, 0xbfee6f0e
	s_mov_b32 s13, 0x3fee6f0e
	;; [unrolled: 1-line block ×4, first 2 shown]
	v_lshlrev_b32_e32 v0, 4, v0
	s_mov_b32 s7, 0xbfe2cf23
	s_mov_b32 s15, 0x3fe2cf23
	;; [unrolled: 1-line block ×4, first 2 shown]
	s_clause 0x8
	global_load_dwordx4 v[26:29], v0, s[8:9] offset:64
	global_load_dwordx4 v[36:39], v0, s[8:9] offset:96
	;; [unrolled: 1-line block ×8, first 2 shown]
	global_load_dwordx4 v[71:74], v0, s[8:9]
	v_mul_i32_i24_e32 v0, 0xffffff90, v65
	s_mov_b32 s11, 0x3fd3c6ef
	s_mov_b32 s16, 0x9b97f4a8
	;; [unrolled: 1-line block ×4, first 2 shown]
	v_add3_u32 v0, v35, v0, v33
	s_mov_b32 s18, s10
	s_mov_b32 s21, 0xbfe9e377
	ds_read_b128 v[75:78], v66 offset:5120
	ds_read_b128 v[79:82], v0 offset:7168
	;; [unrolled: 1-line block ×8, first 2 shown]
	ds_read_b128 v[107:110], v34
	ds_read_b128 v[111:114], v0 offset:1024
	s_mov_b32 s20, s16
	v_lshrrev_b32_e32 v32, 3, v65
	s_waitcnt vmcnt(0) lgkmcnt(0)
	s_barrier
	buffer_gl0_inv
	v_mul_u32_u24_e32 v32, 0x50, v32
	v_mul_f64 v[30:31], v[75:76], v[28:29]
	v_mul_f64 v[115:116], v[79:80], v[38:39]
	;; [unrolled: 1-line block ×18, first 2 shown]
	v_fma_f64 v[30:31], v[77:78], v[26:27], -v[30:31]
	v_fma_f64 v[77:78], v[81:82], v[36:37], -v[115:116]
	;; [unrolled: 1-line block ×4, first 2 shown]
	v_fma_f64 v[26:27], v[75:76], v[26:27], v[28:29]
	v_fma_f64 v[28:29], v[79:80], v[36:37], v[38:39]
	;; [unrolled: 1-line block ×4, first 2 shown]
	v_fma_f64 v[39:40], v[113:114], v[71:72], -v[129:130]
	v_fma_f64 v[89:90], v[91:92], v[48:49], v[121:122]
	v_fma_f64 v[48:49], v[93:94], v[48:49], -v[50:51]
	v_fma_f64 v[50:51], v[95:96], v[52:53], v[123:124]
	;; [unrolled: 2-line block ×5, first 2 shown]
	v_add_f64 v[41:42], v[30:31], v[77:78]
	v_add_f64 v[113:114], v[30:31], -v[77:78]
	v_add_f64 v[43:44], v[81:82], v[85:86]
	v_add_f64 v[111:112], v[81:82], -v[85:86]
	;; [unrolled: 2-line block ×4, first 2 shown]
	v_add_f64 v[119:120], v[81:82], -v[30:31]
	v_add_f64 v[121:122], v[85:86], -v[77:78]
	;; [unrolled: 1-line block ×4, first 2 shown]
	v_add_f64 v[62:63], v[50:51], v[54:55]
	v_add_f64 v[73:74], v[52:53], v[56:57]
	;; [unrolled: 1-line block ×4, first 2 shown]
	v_add_f64 v[97:98], v[58:59], -v[54:55]
	v_add_f64 v[101:102], v[54:55], -v[58:59]
	v_add_f64 v[105:106], v[45:46], v[35:36]
	v_add_f64 v[123:124], v[77:78], -v[85:86]
	v_add_f64 v[79:80], v[107:108], v[89:90]
	v_add_f64 v[103:104], v[109:110], v[48:49]
	v_fma_f64 v[41:42], v[41:42], -0.5, v[39:40]
	v_add_f64 v[115:116], v[35:36], -v[26:27]
	v_fma_f64 v[43:44], v[43:44], -0.5, v[39:40]
	v_add_f64 v[39:40], v[39:40], v[81:82]
	v_fma_f64 v[83:84], v[83:84], -0.5, v[45:46]
	v_add_f64 v[81:82], v[30:31], -v[81:82]
	v_fma_f64 v[45:46], v[87:88], -0.5, v[45:46]
	v_add_f64 v[117:118], v[37:38], -v[28:29]
	v_add_f64 v[125:126], v[48:49], -v[60:61]
	;; [unrolled: 1-line block ×7, first 2 shown]
	v_fma_f64 v[62:63], v[62:63], -0.5, v[107:108]
	v_fma_f64 v[71:72], v[71:72], -0.5, v[107:108]
	;; [unrolled: 1-line block ×4, first 2 shown]
	v_add_f64 v[95:96], v[95:96], v[97:98]
	v_add_f64 v[97:98], v[99:100], v[101:102]
	;; [unrolled: 1-line block ×3, first 2 shown]
	v_add_f64 v[127:128], v[48:49], -v[52:53]
	v_fma_f64 v[129:130], v[91:92], s[12:13], v[41:42]
	v_fma_f64 v[41:42], v[91:92], s[4:5], v[41:42]
	;; [unrolled: 1-line block ×8, first 2 shown]
	v_add_f64 v[81:82], v[81:82], v[123:124]
	v_add_f64 v[47:48], v[52:53], -v[48:49]
	v_add_f64 v[26:27], v[105:106], v[26:27]
	v_add_f64 v[49:50], v[79:80], v[50:51]
	;; [unrolled: 1-line block ×4, first 2 shown]
	v_add_f64 v[137:138], v[60:61], -v[56:57]
	v_add_f64 v[35:36], v[35:36], v[87:88]
	v_fma_f64 v[39:40], v[125:126], s[4:5], v[62:63]
	v_fma_f64 v[62:63], v[125:126], s[12:13], v[62:63]
	;; [unrolled: 1-line block ×10, first 2 shown]
	v_add_f64 v[91:92], v[115:116], v[117:118]
	v_fma_f64 v[93:94], v[135:136], s[4:5], v[75:76]
	v_fma_f64 v[101:102], v[113:114], s[6:7], v[101:102]
	;; [unrolled: 1-line block ×5, first 2 shown]
	v_add_f64 v[139:140], v[56:57], -v[60:61]
	v_fma_f64 v[75:76], v[135:136], s[12:13], v[75:76]
	v_add_f64 v[49:50], v[49:50], v[54:55]
	v_add_f64 v[51:52], v[51:52], v[56:57]
	;; [unrolled: 1-line block ×4, first 2 shown]
	v_fma_f64 v[30:31], v[133:134], s[6:7], v[39:40]
	v_fma_f64 v[39:40], v[133:134], s[14:15], v[62:63]
	;; [unrolled: 1-line block ×10, first 2 shown]
	v_add_f64 v[81:82], v[127:128], v[137:138]
	v_fma_f64 v[73:74], v[89:90], s[14:15], v[93:94]
	v_fma_f64 v[77:78], v[91:92], s[10:11], v[101:102]
	;; [unrolled: 1-line block ×5, first 2 shown]
	v_add_f64 v[47:48], v[47:48], v[139:140]
	v_fma_f64 v[75:76], v[89:90], s[6:7], v[75:76]
	v_add_f64 v[49:50], v[49:50], v[58:59]
	v_add_f64 v[51:52], v[51:52], v[60:61]
	;; [unrolled: 1-line block ×4, first 2 shown]
	v_fma_f64 v[30:31], v[95:96], s[10:11], v[30:31]
	v_fma_f64 v[85:86], v[95:96], s[10:11], v[39:40]
	;; [unrolled: 1-line block ×4, first 2 shown]
	v_mul_f64 v[45:46], v[105:106], s[6:7]
	v_mul_f64 v[93:94], v[105:106], s[16:17]
	;; [unrolled: 1-line block ×8, first 2 shown]
	v_fma_f64 v[61:62], v[81:82], s[10:11], v[62:63]
	v_fma_f64 v[63:64], v[81:82], s[10:11], v[71:72]
	;; [unrolled: 1-line block ×4, first 2 shown]
	v_add_f64 v[39:40], v[49:50], -v[26:27]
	v_add_f64 v[37:38], v[51:52], v[28:29]
	v_fma_f64 v[59:60], v[77:78], s[16:17], v[45:46]
	v_fma_f64 v[77:78], v[77:78], s[14:15], v[93:94]
	;; [unrolled: 1-line block ×8, first 2 shown]
	v_add_f64 v[35:36], v[49:50], v[26:27]
	v_add_f64 v[41:42], v[51:52], -v[28:29]
	v_or_b32_e32 v91, v32, v25
	v_add_f64 v[43:44], v[30:31], v[59:60]
	v_add_f64 v[45:46], v[61:62], v[77:78]
	;; [unrolled: 1-line block ×8, first 2 shown]
	v_add_f64 v[59:60], v[30:31], -v[59:60]
	v_add_f64 v[61:62], v[61:62], -v[77:78]
	;; [unrolled: 1-line block ×8, first 2 shown]
	v_lshlrev_b32_e32 v63, 4, v91
	v_add3_u32 v33, 0, v63, v33
	ds_write_b128 v33, v[35:38]
	ds_write_b128 v33, v[39:42] offset:640
	ds_write_b128 v33, v[43:46] offset:128
	;; [unrolled: 1-line block ×9, first 2 shown]
	s_waitcnt lgkmcnt(0)
	s_barrier
	buffer_gl0_inv
	ds_read_b128 v[33:36], v34
	ds_read_b128 v[61:64], v66 offset:1280
	ds_read_b128 v[49:52], v66 offset:2560
	;; [unrolled: 1-line block ×7, first 2 shown]
	s_and_saveexec_b32 s1, s0
	s_cbranch_execz .LBB0_21
; %bb.20:
	ds_read_b128 v[25:28], v66 offset:2304
	ds_read_b128 v[1:4], v66 offset:3584
	;; [unrolled: 1-line block ×8, first 2 shown]
.LBB0_21:
	s_or_b32 exec_lo, exec_lo, s1
	v_mul_u32_u24_e32 v71, 7, v65
	s_mov_b32 s4, 0x667f3bcd
	s_mov_b32 s5, 0xbfe6a09e
	;; [unrolled: 1-line block ×4, first 2 shown]
	v_lshlrev_b32_e32 v95, 4, v71
	v_cmp_gt_u32_e64 s1, 0x50, v70
	s_clause 0x6
	global_load_dwordx4 v[71:74], v95, s[8:9] offset:1152
	global_load_dwordx4 v[75:78], v95, s[8:9] offset:1168
	;; [unrolled: 1-line block ×7, first 2 shown]
	s_waitcnt vmcnt(0) lgkmcnt(0)
	s_barrier
	buffer_gl0_inv
	v_mul_f64 v[99:100], v[63:64], v[73:74]
	v_mul_f64 v[73:74], v[61:62], v[73:74]
	v_mul_f64 v[101:102], v[51:52], v[77:78]
	v_mul_f64 v[77:78], v[49:50], v[77:78]
	v_mul_f64 v[103:104], v[55:56], v[81:82]
	v_mul_f64 v[81:82], v[53:54], v[81:82]
	v_mul_f64 v[105:106], v[59:60], v[85:86]
	v_mul_f64 v[85:86], v[57:58], v[85:86]
	v_mul_f64 v[107:108], v[47:48], v[89:90]
	v_mul_f64 v[89:90], v[45:46], v[89:90]
	v_mul_f64 v[109:110], v[39:40], v[93:94]
	v_mul_f64 v[93:94], v[37:38], v[93:94]
	v_mul_f64 v[111:112], v[43:44], v[97:98]
	v_mul_f64 v[97:98], v[41:42], v[97:98]
	v_fma_f64 v[61:62], v[61:62], v[71:72], v[99:100]
	v_fma_f64 v[63:64], v[63:64], v[71:72], -v[73:74]
	v_fma_f64 v[49:50], v[49:50], v[75:76], v[101:102]
	v_fma_f64 v[51:52], v[51:52], v[75:76], -v[77:78]
	;; [unrolled: 2-line block ×7, first 2 shown]
	v_add_f64 v[53:54], v[33:34], -v[53:54]
	v_add_f64 v[55:56], v[35:36], -v[55:56]
	;; [unrolled: 1-line block ×8, first 2 shown]
	v_fma_f64 v[33:34], v[33:34], 2.0, -v[53:54]
	v_fma_f64 v[35:36], v[35:36], 2.0, -v[55:56]
	v_fma_f64 v[49:50], v[49:50], 2.0, -v[57:58]
	v_fma_f64 v[51:52], v[51:52], 2.0, -v[59:60]
	v_fma_f64 v[61:62], v[61:62], 2.0, -v[45:46]
	v_fma_f64 v[63:64], v[63:64], 2.0, -v[47:48]
	v_add_f64 v[59:60], v[53:54], v[59:60]
	v_add_f64 v[57:58], v[55:56], -v[57:58]
	v_fma_f64 v[37:38], v[37:38], 2.0, -v[41:42]
	v_fma_f64 v[39:40], v[39:40], 2.0, -v[43:44]
	v_add_f64 v[43:44], v[45:46], v[43:44]
	v_add_f64 v[41:42], v[47:48], -v[41:42]
	v_add_f64 v[49:50], v[33:34], -v[49:50]
	;; [unrolled: 1-line block ×3, first 2 shown]
	v_fma_f64 v[71:72], v[53:54], 2.0, -v[59:60]
	v_fma_f64 v[73:74], v[55:56], 2.0, -v[57:58]
	v_add_f64 v[37:38], v[61:62], -v[37:38]
	v_add_f64 v[39:40], v[63:64], -v[39:40]
	v_fma_f64 v[53:54], v[45:46], 2.0, -v[43:44]
	v_fma_f64 v[45:46], v[47:48], 2.0, -v[41:42]
	v_fma_f64 v[47:48], v[43:44], s[6:7], v[59:60]
	v_fma_f64 v[55:56], v[41:42], s[6:7], v[57:58]
	v_fma_f64 v[75:76], v[33:34], 2.0, -v[49:50]
	v_fma_f64 v[77:78], v[35:36], 2.0, -v[51:52]
	;; [unrolled: 1-line block ×4, first 2 shown]
	v_fma_f64 v[79:80], v[53:54], s[4:5], v[71:72]
	v_fma_f64 v[81:82], v[45:46], s[4:5], v[73:74]
	v_add_f64 v[33:34], v[49:50], v[39:40]
	v_add_f64 v[35:36], v[51:52], -v[37:38]
	v_fma_f64 v[37:38], v[41:42], s[6:7], v[47:48]
	v_fma_f64 v[39:40], v[43:44], s[4:5], v[55:56]
	v_add_f64 v[41:42], v[75:76], -v[61:62]
	v_add_f64 v[43:44], v[77:78], -v[63:64]
	v_fma_f64 v[45:46], v[45:46], s[6:7], v[79:80]
	v_fma_f64 v[47:48], v[53:54], s[4:5], v[81:82]
	v_fma_f64 v[49:50], v[49:50], 2.0, -v[33:34]
	v_fma_f64 v[51:52], v[51:52], 2.0, -v[35:36]
	;; [unrolled: 1-line block ×8, first 2 shown]
	ds_write_b128 v66, v[33:36] offset:7680
	ds_write_b128 v66, v[49:52] offset:2560
	;; [unrolled: 1-line block ×5, first 2 shown]
	ds_write_b128 v66, v[57:60]
	ds_write_b128 v66, v[61:64] offset:1280
	ds_write_b128 v66, v[37:40] offset:8960
	s_and_saveexec_b32 s10, s0
	s_cbranch_execz .LBB0_23
; %bb.22:
	v_add_nc_u32_e32 v33, -16, v65
	v_mov_b32_e32 v34, 0
	v_cndmask_b32_e64 v33, v33, v70, s1
	v_mul_i32_i24_e32 v33, 7, v33
	v_lshlrev_b64 v[33:34], 4, v[33:34]
	v_add_co_u32 v57, s0, s8, v33
	v_add_co_ci_u32_e64 v58, s0, s9, v34, s0
	s_clause 0x6
	global_load_dwordx4 v[33:36], v[57:58], off offset:1200
	global_load_dwordx4 v[37:40], v[57:58], off offset:1168
	;; [unrolled: 1-line block ×7, first 2 shown]
	s_waitcnt vmcnt(6)
	v_mul_f64 v[61:62], v[9:10], v[35:36]
	s_waitcnt vmcnt(5)
	v_mul_f64 v[63:64], v[3:4], v[39:40]
	;; [unrolled: 2-line block ×7, first 2 shown]
	v_mul_f64 v[47:48], v[27:28], v[47:48]
	v_mul_f64 v[39:40], v[1:2], v[39:40]
	;; [unrolled: 1-line block ×7, first 2 shown]
	v_fma_f64 v[11:12], v[11:12], v[33:34], -v[61:62]
	v_fma_f64 v[1:2], v[1:2], v[37:38], v[63:64]
	v_fma_f64 v[17:18], v[17:18], v[41:42], v[70:71]
	v_fma_f64 v[27:28], v[27:28], v[45:46], -v[72:73]
	v_fma_f64 v[15:16], v[15:16], v[49:50], -v[74:75]
	v_fma_f64 v[5:6], v[5:6], v[53:54], v[76:77]
	v_fma_f64 v[21:22], v[21:22], v[57:58], v[78:79]
	;; [unrolled: 1-line block ×3, first 2 shown]
	v_fma_f64 v[3:4], v[3:4], v[37:38], -v[39:40]
	v_fma_f64 v[19:20], v[19:20], v[41:42], -v[43:44]
	v_fma_f64 v[13:14], v[13:14], v[49:50], v[51:52]
	v_fma_f64 v[9:10], v[9:10], v[33:34], v[35:36]
	v_fma_f64 v[7:8], v[7:8], v[53:54], -v[55:56]
	v_fma_f64 v[23:24], v[23:24], v[57:58], -v[59:60]
	v_add_f64 v[11:12], v[31:32], -v[11:12]
	v_add_f64 v[17:18], v[1:2], -v[17:18]
	;; [unrolled: 1-line block ×8, first 2 shown]
	v_fma_f64 v[31:32], v[31:32], 2.0, -v[11:12]
	v_add_f64 v[33:34], v[11:12], -v[17:18]
	v_fma_f64 v[1:2], v[1:2], 2.0, -v[17:18]
	v_fma_f64 v[27:28], v[27:28], 2.0, -v[15:16]
	v_add_f64 v[35:36], v[15:16], -v[21:22]
	v_fma_f64 v[5:6], v[5:6], 2.0, -v[21:22]
	v_fma_f64 v[3:4], v[3:4], 2.0, -v[19:20]
	;; [unrolled: 1-line block ×4, first 2 shown]
	v_add_f64 v[37:38], v[9:10], v[19:20]
	v_fma_f64 v[7:8], v[7:8], 2.0, -v[23:24]
	v_add_f64 v[17:18], v[13:14], v[23:24]
	v_fma_f64 v[29:30], v[11:12], 2.0, -v[33:34]
	v_fma_f64 v[19:20], v[15:16], 2.0, -v[35:36]
	v_add_f64 v[23:24], v[31:32], -v[3:4]
	v_add_f64 v[5:6], v[25:26], -v[5:6]
	;; [unrolled: 1-line block ×3, first 2 shown]
	v_fma_f64 v[43:44], v[9:10], 2.0, -v[37:38]
	v_add_f64 v[39:40], v[27:28], -v[7:8]
	v_fma_f64 v[1:2], v[13:14], 2.0, -v[17:18]
	v_fma_f64 v[3:4], v[35:36], s[6:7], v[33:34]
	v_fma_f64 v[45:46], v[17:18], s[6:7], v[37:38]
	;; [unrolled: 1-line block ×3, first 2 shown]
	v_fma_f64 v[31:32], v[31:32], 2.0, -v[23:24]
	v_fma_f64 v[25:26], v[25:26], 2.0, -v[5:6]
	v_fma_f64 v[21:22], v[21:22], 2.0, -v[41:42]
	v_add_f64 v[7:8], v[23:24], -v[5:6]
	v_fma_f64 v[13:14], v[27:28], 2.0, -v[39:40]
	v_fma_f64 v[27:28], v[1:2], s[4:5], v[43:44]
	v_add_f64 v[5:6], v[41:42], v[39:40]
	v_fma_f64 v[3:4], v[17:18], s[4:5], v[3:4]
	v_fma_f64 v[11:12], v[1:2], s[4:5], v[9:10]
	;; [unrolled: 1-line block ×3, first 2 shown]
	v_fma_f64 v[23:24], v[23:24], 2.0, -v[7:8]
	v_add_f64 v[15:16], v[31:32], -v[13:14]
	v_add_f64 v[13:14], v[21:22], -v[25:26]
	v_fma_f64 v[9:10], v[19:20], s[6:7], v[27:28]
	v_fma_f64 v[19:20], v[33:34], 2.0, -v[3:4]
	v_fma_f64 v[27:28], v[29:30], 2.0, -v[11:12]
	v_fma_f64 v[17:18], v[37:38], 2.0, -v[1:2]
	v_fma_f64 v[31:32], v[31:32], 2.0, -v[15:16]
	v_fma_f64 v[29:30], v[21:22], 2.0, -v[13:14]
	v_fma_f64 v[25:26], v[43:44], 2.0, -v[9:10]
	v_fma_f64 v[21:22], v[41:42], 2.0, -v[5:6]
	ds_write_b128 v0, v[29:32] offset:1024
	ds_write_b128 v66, v[25:28] offset:2304
	;; [unrolled: 1-line block ×8, first 2 shown]
.LBB0_23:
	s_or_b32 exec_lo, exec_lo, s10
	s_waitcnt lgkmcnt(0)
	s_barrier
	buffer_gl0_inv
	s_and_saveexec_b32 s0, vcc_lo
	s_cbranch_execz .LBB0_25
; %bb.24:
	v_mov_b32_e32 v66, 0
	v_lshl_add_u32 v30, v65, 4, v69
	v_add_nc_u32_e32 v8, 64, v65
	v_add_co_u32 v31, vcc_lo, s2, v67
	v_mov_b32_e32 v9, v66
	v_lshlrev_b64 v[12:13], 4, v[65:66]
	ds_read_b128 v[0:3], v30
	ds_read_b128 v[4:7], v30 offset:1024
	v_add_co_ci_u32_e32 v32, vcc_lo, s3, v68, vcc_lo
	v_lshlrev_b64 v[14:15], 4, v[8:9]
	ds_read_b128 v[8:11], v30 offset:2048
	v_add_nc_u32_e32 v16, 0x80, v65
	v_mov_b32_e32 v17, v66
	v_add_co_u32 v20, vcc_lo, v31, v12
	v_add_co_ci_u32_e32 v21, vcc_lo, v32, v13, vcc_lo
	v_lshlrev_b64 v[12:13], 4, v[16:17]
	v_add_nc_u32_e32 v16, 0xc0, v65
	v_add_co_u32 v22, vcc_lo, v31, v14
	v_add_co_ci_u32_e32 v23, vcc_lo, v32, v15, vcc_lo
	v_lshlrev_b64 v[26:27], 4, v[16:17]
	ds_read_b128 v[16:19], v30 offset:4096
	v_add_co_u32 v24, vcc_lo, v31, v12
	v_add_nc_u32_e32 v28, 0x100, v65
	v_mov_b32_e32 v29, v66
	v_add_co_ci_u32_e32 v25, vcc_lo, v32, v13, vcc_lo
	ds_read_b128 v[12:15], v30 offset:3072
	s_waitcnt lgkmcnt(4)
	global_store_dwordx4 v[20:21], v[0:3], off
	s_waitcnt lgkmcnt(3)
	global_store_dwordx4 v[22:23], v[4:7], off
	;; [unrolled: 2-line block ×3, first 2 shown]
	v_lshlrev_b64 v[0:1], 4, v[28:29]
	v_add_co_u32 v2, vcc_lo, v31, v26
	v_add_co_ci_u32_e32 v3, vcc_lo, v32, v27, vcc_lo
	v_add_nc_u32_e32 v4, 0x140, v65
	v_mov_b32_e32 v5, v66
	v_add_co_u32 v6, vcc_lo, v31, v0
	v_add_co_ci_u32_e32 v7, vcc_lo, v32, v1, vcc_lo
	v_add_nc_u32_e32 v8, 0x180, v65
	v_mov_b32_e32 v9, v66
	v_lshlrev_b64 v[4:5], 4, v[4:5]
	s_waitcnt lgkmcnt(1)
	global_store_dwordx4 v[6:7], v[16:19], off
	v_add_nc_u32_e32 v24, 0x200, v65
	v_mov_b32_e32 v25, v66
	v_lshlrev_b64 v[6:7], 4, v[8:9]
	s_waitcnt lgkmcnt(0)
	global_store_dwordx4 v[2:3], v[12:15], off
	v_add_co_u32 v20, vcc_lo, v31, v4
	v_add_nc_u32_e32 v12, 0x1c0, v65
	v_mov_b32_e32 v13, v66
	v_add_co_ci_u32_e32 v21, vcc_lo, v32, v5, vcc_lo
	v_add_co_u32 v22, vcc_lo, v31, v6
	ds_read_b128 v[0:3], v30 offset:5120
	v_add_co_ci_u32_e32 v23, vcc_lo, v32, v7, vcc_lo
	ds_read_b128 v[4:7], v30 offset:6144
	ds_read_b128 v[8:11], v30 offset:7168
	v_lshlrev_b64 v[26:27], 4, v[12:13]
	ds_read_b128 v[12:15], v30 offset:8192
	ds_read_b128 v[16:19], v30 offset:9216
	v_add_nc_u32_e32 v65, 0x240, v65
	v_lshlrev_b64 v[24:25], 4, v[24:25]
	v_add_co_u32 v26, vcc_lo, v31, v26
	v_lshlrev_b64 v[28:29], 4, v[65:66]
	v_add_co_ci_u32_e32 v27, vcc_lo, v32, v27, vcc_lo
	v_add_co_u32 v24, vcc_lo, v31, v24
	v_add_co_ci_u32_e32 v25, vcc_lo, v32, v25, vcc_lo
	v_add_co_u32 v28, vcc_lo, v31, v28
	v_add_co_ci_u32_e32 v29, vcc_lo, v32, v29, vcc_lo
	s_waitcnt lgkmcnt(4)
	global_store_dwordx4 v[20:21], v[0:3], off
	s_waitcnt lgkmcnt(3)
	global_store_dwordx4 v[22:23], v[4:7], off
	;; [unrolled: 2-line block ×5, first 2 shown]
.LBB0_25:
	s_endpgm
	.section	.rodata,"a",@progbits
	.p2align	6, 0x0
	.amdhsa_kernel fft_rtc_back_len640_factors_8_10_8_wgs_128_tpt_64_halfLds_dp_ip_CI_unitstride_sbrr_C2R_dirReg
		.amdhsa_group_segment_fixed_size 0
		.amdhsa_private_segment_fixed_size 0
		.amdhsa_kernarg_size 88
		.amdhsa_user_sgpr_count 6
		.amdhsa_user_sgpr_private_segment_buffer 1
		.amdhsa_user_sgpr_dispatch_ptr 0
		.amdhsa_user_sgpr_queue_ptr 0
		.amdhsa_user_sgpr_kernarg_segment_ptr 1
		.amdhsa_user_sgpr_dispatch_id 0
		.amdhsa_user_sgpr_flat_scratch_init 0
		.amdhsa_user_sgpr_private_segment_size 0
		.amdhsa_wavefront_size32 1
		.amdhsa_uses_dynamic_stack 0
		.amdhsa_system_sgpr_private_segment_wavefront_offset 0
		.amdhsa_system_sgpr_workgroup_id_x 1
		.amdhsa_system_sgpr_workgroup_id_y 0
		.amdhsa_system_sgpr_workgroup_id_z 0
		.amdhsa_system_sgpr_workgroup_info 0
		.amdhsa_system_vgpr_workitem_id 0
		.amdhsa_next_free_vgpr 141
		.amdhsa_next_free_sgpr 22
		.amdhsa_reserve_vcc 1
		.amdhsa_reserve_flat_scratch 0
		.amdhsa_float_round_mode_32 0
		.amdhsa_float_round_mode_16_64 0
		.amdhsa_float_denorm_mode_32 3
		.amdhsa_float_denorm_mode_16_64 3
		.amdhsa_dx10_clamp 1
		.amdhsa_ieee_mode 1
		.amdhsa_fp16_overflow 0
		.amdhsa_workgroup_processor_mode 1
		.amdhsa_memory_ordered 1
		.amdhsa_forward_progress 0
		.amdhsa_shared_vgpr_count 0
		.amdhsa_exception_fp_ieee_invalid_op 0
		.amdhsa_exception_fp_denorm_src 0
		.amdhsa_exception_fp_ieee_div_zero 0
		.amdhsa_exception_fp_ieee_overflow 0
		.amdhsa_exception_fp_ieee_underflow 0
		.amdhsa_exception_fp_ieee_inexact 0
		.amdhsa_exception_int_div_zero 0
	.end_amdhsa_kernel
	.text
.Lfunc_end0:
	.size	fft_rtc_back_len640_factors_8_10_8_wgs_128_tpt_64_halfLds_dp_ip_CI_unitstride_sbrr_C2R_dirReg, .Lfunc_end0-fft_rtc_back_len640_factors_8_10_8_wgs_128_tpt_64_halfLds_dp_ip_CI_unitstride_sbrr_C2R_dirReg
                                        ; -- End function
	.section	.AMDGPU.csdata,"",@progbits
; Kernel info:
; codeLenInByte = 8104
; NumSgprs: 24
; NumVgprs: 141
; ScratchSize: 0
; MemoryBound: 0
; FloatMode: 240
; IeeeMode: 1
; LDSByteSize: 0 bytes/workgroup (compile time only)
; SGPRBlocks: 2
; VGPRBlocks: 17
; NumSGPRsForWavesPerEU: 24
; NumVGPRsForWavesPerEU: 141
; Occupancy: 7
; WaveLimiterHint : 1
; COMPUTE_PGM_RSRC2:SCRATCH_EN: 0
; COMPUTE_PGM_RSRC2:USER_SGPR: 6
; COMPUTE_PGM_RSRC2:TRAP_HANDLER: 0
; COMPUTE_PGM_RSRC2:TGID_X_EN: 1
; COMPUTE_PGM_RSRC2:TGID_Y_EN: 0
; COMPUTE_PGM_RSRC2:TGID_Z_EN: 0
; COMPUTE_PGM_RSRC2:TIDIG_COMP_CNT: 0
	.text
	.p2alignl 6, 3214868480
	.fill 48, 4, 3214868480
	.type	__hip_cuid_468d6dbc69d56079,@object ; @__hip_cuid_468d6dbc69d56079
	.section	.bss,"aw",@nobits
	.globl	__hip_cuid_468d6dbc69d56079
__hip_cuid_468d6dbc69d56079:
	.byte	0                               ; 0x0
	.size	__hip_cuid_468d6dbc69d56079, 1

	.ident	"AMD clang version 19.0.0git (https://github.com/RadeonOpenCompute/llvm-project roc-6.4.0 25133 c7fe45cf4b819c5991fe208aaa96edf142730f1d)"
	.section	".note.GNU-stack","",@progbits
	.addrsig
	.addrsig_sym __hip_cuid_468d6dbc69d56079
	.amdgpu_metadata
---
amdhsa.kernels:
  - .args:
      - .actual_access:  read_only
        .address_space:  global
        .offset:         0
        .size:           8
        .value_kind:     global_buffer
      - .offset:         8
        .size:           8
        .value_kind:     by_value
      - .actual_access:  read_only
        .address_space:  global
        .offset:         16
        .size:           8
        .value_kind:     global_buffer
      - .actual_access:  read_only
        .address_space:  global
        .offset:         24
        .size:           8
        .value_kind:     global_buffer
      - .offset:         32
        .size:           8
        .value_kind:     by_value
      - .actual_access:  read_only
        .address_space:  global
        .offset:         40
        .size:           8
        .value_kind:     global_buffer
      - .actual_access:  read_only
        .address_space:  global
        .offset:         48
        .size:           8
        .value_kind:     global_buffer
      - .offset:         56
        .size:           4
        .value_kind:     by_value
      - .actual_access:  read_only
        .address_space:  global
        .offset:         64
        .size:           8
        .value_kind:     global_buffer
      - .actual_access:  read_only
        .address_space:  global
        .offset:         72
        .size:           8
        .value_kind:     global_buffer
      - .address_space:  global
        .offset:         80
        .size:           8
        .value_kind:     global_buffer
    .group_segment_fixed_size: 0
    .kernarg_segment_align: 8
    .kernarg_segment_size: 88
    .language:       OpenCL C
    .language_version:
      - 2
      - 0
    .max_flat_workgroup_size: 128
    .name:           fft_rtc_back_len640_factors_8_10_8_wgs_128_tpt_64_halfLds_dp_ip_CI_unitstride_sbrr_C2R_dirReg
    .private_segment_fixed_size: 0
    .sgpr_count:     24
    .sgpr_spill_count: 0
    .symbol:         fft_rtc_back_len640_factors_8_10_8_wgs_128_tpt_64_halfLds_dp_ip_CI_unitstride_sbrr_C2R_dirReg.kd
    .uniform_work_group_size: 1
    .uses_dynamic_stack: false
    .vgpr_count:     141
    .vgpr_spill_count: 0
    .wavefront_size: 32
    .workgroup_processor_mode: 1
amdhsa.target:   amdgcn-amd-amdhsa--gfx1030
amdhsa.version:
  - 1
  - 2
...

	.end_amdgpu_metadata
